;; amdgpu-corpus repo=ggml-org/llama.cpp kind=compiled arch=gfx1250 opt=O3
	.amdgcn_target "amdgcn-amd-amdhsa--gfx1250"
	.amdhsa_code_object_version 6
	.section	.text._ZL25pad_reflect_1d_kernel_f32PKvPvll15HIP_vector_typeIjLj3EEllllllllllii,"axG",@progbits,_ZL25pad_reflect_1d_kernel_f32PKvPvll15HIP_vector_typeIjLj3EEllllllllllii,comdat
	.globl	_ZL25pad_reflect_1d_kernel_f32PKvPvll15HIP_vector_typeIjLj3EEllllllllllii ; -- Begin function _ZL25pad_reflect_1d_kernel_f32PKvPvll15HIP_vector_typeIjLj3EEllllllllllii
	.p2align	8
	.type	_ZL25pad_reflect_1d_kernel_f32PKvPvll15HIP_vector_typeIjLj3EEllllllllllii,@function
_ZL25pad_reflect_1d_kernel_f32PKvPvll15HIP_vector_typeIjLj3EEllllllllllii: ; @_ZL25pad_reflect_1d_kernel_f32PKvPvll15HIP_vector_typeIjLj3EEllllllllllii
; %bb.0:
	s_clause 0x2
	s_load_b128 s[20:23], s[0:1], 0x10
	s_load_b96 s[24:26], s[0:1], 0x20
	s_load_b32 s28, s[0:1], 0x94
	s_bfe_u32 s2, ttmp6, 0x4000c
	s_bfe_u32 s4, ttmp6, 0x40010
	s_add_co_i32 s2, s2, 1
	s_and_b32 s3, ttmp6, 15
	s_mul_i32 s2, ttmp9, s2
	s_and_b32 s27, ttmp7, 0xffff
	s_add_co_i32 s4, s4, 1
	s_bfe_u32 s5, ttmp6, 0x40014
	s_add_co_i32 s3, s3, s2
	s_mul_i32 s2, s27, s4
	s_bfe_u32 s4, ttmp6, 0x40004
	s_lshr_b32 s29, ttmp7, 16
	s_add_co_i32 s5, s5, 1
	s_add_co_i32 s30, s4, s2
	s_mul_i32 s2, s29, s5
	s_bfe_u32 s4, ttmp6, 0x40008
	s_getreg_b32 s5, hwreg(HW_REG_IB_STS2, 6, 4)
	s_add_co_i32 s2, s4, s2
	s_cmp_eq_u32 s5, 0
	s_load_b512 s[4:19], s[0:1], 0x30
	s_cselect_b32 s31, ttmp9, s3
	v_mov_b32_e32 v1, 0
	s_wait_kmcnt 0x0
	s_mul_hi_u32 s3, s24, s31
	s_cselect_b32 s2, s29, s2
	s_cselect_b32 s24, s27, s30
	s_add_co_i32 s3, s31, s3
	s_delay_alu instid0(SALU_CYCLE_1) | instskip(SKIP_1) | instid1(SALU_CYCLE_1)
	s_lshr_b32 s27, s3, s25
	s_and_b32 s3, s28, 0xffff
	v_mad_nc_u64_u32 v[0:1], s27, s3, v[0:1]
	s_mov_b32 s3, 0
	s_mul_i32 s27, s27, s26
	s_mov_b32 s25, s3
	s_delay_alu instid0(SALU_CYCLE_1) | instskip(SKIP_1) | instid1(VALU_DEP_3)
	v_cmp_gt_i64_e64 s4, s[4:5], s[24:25]
	v_cmp_gt_i64_e64 s5, s[6:7], s[2:3]
	v_cmp_gt_i64_e32 vcc_lo, s[20:21], v[0:1]
	s_sub_co_i32 s20, s31, s27
	s_delay_alu instid0(SALU_CYCLE_1) | instskip(SKIP_1) | instid1(SALU_CYCLE_1)
	s_cmp_lt_u32 s20, s26
	s_cselect_b32 s6, -1, 0
	s_and_b32 s6, vcc_lo, s6
	s_delay_alu instid0(SALU_CYCLE_1) | instskip(NEXT) | instid1(SALU_CYCLE_1)
	s_and_b32 s4, s4, s6
	s_and_b32 s4, s5, s4
	s_delay_alu instid0(SALU_CYCLE_1)
	s_and_saveexec_b32 s5, s4
	s_cbranch_execz .LBB0_6
; %bb.1:
	s_clause 0x1
	s_load_b32 s26, s[0:1], 0x80
	s_load_b128 s[4:7], s[0:1], 0x0
	s_mov_b32 s21, exec_lo
	s_wait_kmcnt 0x0
	s_ashr_i32 s27, s26, 31
	s_delay_alu instid0(SALU_CYCLE_1) | instskip(NEXT) | instid1(VALU_DEP_1)
	v_sub_nc_u64_e64 v[4:5], v[0:1], s[26:27]
	v_sub_nc_u64_e32 v[2:3], 0, v[4:5]
	v_cmpx_lt_i64_e32 -1, v[4:5]
	s_cbranch_execz .LBB0_5
; %bb.2:
	s_mov_b32 s26, exec_lo
	v_cmpx_le_i64_e64 s[22:23], v[4:5]
; %bb.3:
	s_lshl_b64 s[22:23], s[22:23], 1
	s_delay_alu instid0(SALU_CYCLE_1) | instskip(NEXT) | instid1(VALU_DEP_1)
	v_sub_nc_u64_e32 v[2:3], s[22:23], v[4:5]
	v_add_nc_u64_e32 v[4:5], -2, v[2:3]
; %bb.4:
	s_or_b32 exec_lo, exec_lo, s26
	s_delay_alu instid0(VALU_DEP_1)
	v_mov_b64_e32 v[2:3], v[4:5]
.LBB0_5:
	s_or_b32 exec_lo, exec_lo, s21
	s_mul_u64 s[14:15], s[14:15], s[2:3]
	s_mul_u64 s[12:13], s[12:13], s[24:25]
	s_add_nc_u64 s[4:5], s[4:5], s[14:15]
	s_mov_b32 s21, 0
	s_add_nc_u64 s[4:5], s[4:5], s[12:13]
	s_mul_u64 s[10:11], s[10:11], s[20:21]
	s_delay_alu instid0(SALU_CYCLE_1) | instskip(NEXT) | instid1(SALU_CYCLE_1)
	s_add_nc_u64 s[4:5], s[4:5], s[10:11]
	v_mad_nc_u64_u32 v[4:5], v2, s8, s[4:5]
	s_delay_alu instid0(VALU_DEP_1) | instskip(NEXT) | instid1(VALU_DEP_1)
	v_mad_u32 v3, v3, s8, v5
	v_mad_u32 v5, v2, s9, v3
	s_load_b128 s[8:11], s[0:1], 0x70
	global_load_b32 v4, v[4:5], off
	s_wait_kmcnt 0x0
	s_mul_u64 s[0:1], s[10:11], s[2:3]
	s_mul_u64 s[2:3], s[8:9], s[24:25]
	s_add_nc_u64 s[0:1], s[6:7], s[0:1]
	s_delay_alu instid0(SALU_CYCLE_1) | instskip(SKIP_1) | instid1(SALU_CYCLE_1)
	s_add_nc_u64 s[0:1], s[0:1], s[2:3]
	s_mul_u64 s[2:3], s[18:19], s[20:21]
	s_add_nc_u64 s[0:1], s[0:1], s[2:3]
	s_delay_alu instid0(SALU_CYCLE_1) | instskip(NEXT) | instid1(VALU_DEP_1)
	v_mad_nc_u64_u32 v[2:3], v0, s16, s[0:1]
	v_mad_u32 v1, v1, s16, v3
	s_delay_alu instid0(VALU_DEP_1)
	v_mad_u32 v3, v0, s17, v1
	s_wait_loadcnt 0x0
	global_store_b32 v[2:3], v4, off
.LBB0_6:
	s_endpgm
	.section	.rodata,"a",@progbits
	.p2align	6, 0x0
	.amdhsa_kernel _ZL25pad_reflect_1d_kernel_f32PKvPvll15HIP_vector_typeIjLj3EEllllllllllii
		.amdhsa_group_segment_fixed_size 0
		.amdhsa_private_segment_fixed_size 0
		.amdhsa_kernarg_size 392
		.amdhsa_user_sgpr_count 2
		.amdhsa_user_sgpr_dispatch_ptr 0
		.amdhsa_user_sgpr_queue_ptr 0
		.amdhsa_user_sgpr_kernarg_segment_ptr 1
		.amdhsa_user_sgpr_dispatch_id 0
		.amdhsa_user_sgpr_kernarg_preload_length 0
		.amdhsa_user_sgpr_kernarg_preload_offset 0
		.amdhsa_user_sgpr_private_segment_size 0
		.amdhsa_wavefront_size32 1
		.amdhsa_uses_dynamic_stack 0
		.amdhsa_enable_private_segment 0
		.amdhsa_system_sgpr_workgroup_id_x 1
		.amdhsa_system_sgpr_workgroup_id_y 1
		.amdhsa_system_sgpr_workgroup_id_z 1
		.amdhsa_system_sgpr_workgroup_info 0
		.amdhsa_system_vgpr_workitem_id 0
		.amdhsa_next_free_vgpr 6
		.amdhsa_next_free_sgpr 32
		.amdhsa_named_barrier_count 0
		.amdhsa_reserve_vcc 1
		.amdhsa_float_round_mode_32 0
		.amdhsa_float_round_mode_16_64 0
		.amdhsa_float_denorm_mode_32 3
		.amdhsa_float_denorm_mode_16_64 3
		.amdhsa_fp16_overflow 0
		.amdhsa_memory_ordered 1
		.amdhsa_forward_progress 1
		.amdhsa_inst_pref_size 5
		.amdhsa_round_robin_scheduling 0
		.amdhsa_exception_fp_ieee_invalid_op 0
		.amdhsa_exception_fp_denorm_src 0
		.amdhsa_exception_fp_ieee_div_zero 0
		.amdhsa_exception_fp_ieee_overflow 0
		.amdhsa_exception_fp_ieee_underflow 0
		.amdhsa_exception_fp_ieee_inexact 0
		.amdhsa_exception_int_div_zero 0
	.end_amdhsa_kernel
	.section	.text._ZL25pad_reflect_1d_kernel_f32PKvPvll15HIP_vector_typeIjLj3EEllllllllllii,"axG",@progbits,_ZL25pad_reflect_1d_kernel_f32PKvPvll15HIP_vector_typeIjLj3EEllllllllllii,comdat
.Lfunc_end0:
	.size	_ZL25pad_reflect_1d_kernel_f32PKvPvll15HIP_vector_typeIjLj3EEllllllllllii, .Lfunc_end0-_ZL25pad_reflect_1d_kernel_f32PKvPvll15HIP_vector_typeIjLj3EEllllllllllii
                                        ; -- End function
	.set _ZL25pad_reflect_1d_kernel_f32PKvPvll15HIP_vector_typeIjLj3EEllllllllllii.num_vgpr, 6
	.set _ZL25pad_reflect_1d_kernel_f32PKvPvll15HIP_vector_typeIjLj3EEllllllllllii.num_agpr, 0
	.set _ZL25pad_reflect_1d_kernel_f32PKvPvll15HIP_vector_typeIjLj3EEllllllllllii.numbered_sgpr, 32
	.set _ZL25pad_reflect_1d_kernel_f32PKvPvll15HIP_vector_typeIjLj3EEllllllllllii.num_named_barrier, 0
	.set _ZL25pad_reflect_1d_kernel_f32PKvPvll15HIP_vector_typeIjLj3EEllllllllllii.private_seg_size, 0
	.set _ZL25pad_reflect_1d_kernel_f32PKvPvll15HIP_vector_typeIjLj3EEllllllllllii.uses_vcc, 1
	.set _ZL25pad_reflect_1d_kernel_f32PKvPvll15HIP_vector_typeIjLj3EEllllllllllii.uses_flat_scratch, 0
	.set _ZL25pad_reflect_1d_kernel_f32PKvPvll15HIP_vector_typeIjLj3EEllllllllllii.has_dyn_sized_stack, 0
	.set _ZL25pad_reflect_1d_kernel_f32PKvPvll15HIP_vector_typeIjLj3EEllllllllllii.has_recursion, 0
	.set _ZL25pad_reflect_1d_kernel_f32PKvPvll15HIP_vector_typeIjLj3EEllllllllllii.has_indirect_call, 0
	.section	.AMDGPU.csdata,"",@progbits
; Kernel info:
; codeLenInByte = 532
; TotalNumSgprs: 34
; NumVgprs: 6
; ScratchSize: 0
; MemoryBound: 0
; FloatMode: 240
; IeeeMode: 1
; LDSByteSize: 0 bytes/workgroup (compile time only)
; SGPRBlocks: 0
; VGPRBlocks: 0
; NumSGPRsForWavesPerEU: 34
; NumVGPRsForWavesPerEU: 6
; NamedBarCnt: 0
; Occupancy: 16
; WaveLimiterHint : 0
; COMPUTE_PGM_RSRC2:SCRATCH_EN: 0
; COMPUTE_PGM_RSRC2:USER_SGPR: 2
; COMPUTE_PGM_RSRC2:TRAP_HANDLER: 0
; COMPUTE_PGM_RSRC2:TGID_X_EN: 1
; COMPUTE_PGM_RSRC2:TGID_Y_EN: 1
; COMPUTE_PGM_RSRC2:TGID_Z_EN: 1
; COMPUTE_PGM_RSRC2:TIDIG_COMP_CNT: 0
	.section	.AMDGPU.gpr_maximums,"",@progbits
	.set amdgpu.max_num_vgpr, 0
	.set amdgpu.max_num_agpr, 0
	.set amdgpu.max_num_sgpr, 0
	.section	.AMDGPU.csdata,"",@progbits
	.type	__hip_cuid_678367758ceeb110,@object ; @__hip_cuid_678367758ceeb110
	.section	.bss,"aw",@nobits
	.globl	__hip_cuid_678367758ceeb110
__hip_cuid_678367758ceeb110:
	.byte	0                               ; 0x0
	.size	__hip_cuid_678367758ceeb110, 1

	.ident	"AMD clang version 22.0.0git (https://github.com/RadeonOpenCompute/llvm-project roc-7.2.4 26084 f58b06dce1f9c15707c5f808fd002e18c2accf7e)"
	.section	".note.GNU-stack","",@progbits
	.addrsig
	.addrsig_sym __hip_cuid_678367758ceeb110
	.amdgpu_metadata
---
amdhsa.kernels:
  - .args:
      - .actual_access:  read_only
        .address_space:  global
        .offset:         0
        .size:           8
        .value_kind:     global_buffer
      - .actual_access:  write_only
        .address_space:  global
        .offset:         8
        .size:           8
        .value_kind:     global_buffer
      - .offset:         16
        .size:           8
        .value_kind:     by_value
      - .offset:         24
        .size:           8
        .value_kind:     by_value
      - .offset:         32
        .size:           12
        .value_kind:     by_value
      - .offset:         48
        .size:           8
        .value_kind:     by_value
      - .offset:         56
        .size:           8
        .value_kind:     by_value
      - .offset:         64
        .size:           8
        .value_kind:     by_value
      - .offset:         72
        .size:           8
        .value_kind:     by_value
      - .offset:         80
        .size:           8
        .value_kind:     by_value
      - .offset:         88
        .size:           8
        .value_kind:     by_value
      - .offset:         96
        .size:           8
        .value_kind:     by_value
      - .offset:         104
        .size:           8
        .value_kind:     by_value
      - .offset:         112
        .size:           8
        .value_kind:     by_value
      - .offset:         120
        .size:           8
        .value_kind:     by_value
      - .offset:         128
        .size:           4
        .value_kind:     by_value
      - .offset:         132
        .size:           4
        .value_kind:     by_value
      - .offset:         136
        .size:           4
        .value_kind:     hidden_block_count_x
      - .offset:         140
        .size:           4
        .value_kind:     hidden_block_count_y
      - .offset:         144
        .size:           4
        .value_kind:     hidden_block_count_z
      - .offset:         148
        .size:           2
        .value_kind:     hidden_group_size_x
      - .offset:         150
        .size:           2
        .value_kind:     hidden_group_size_y
      - .offset:         152
        .size:           2
        .value_kind:     hidden_group_size_z
      - .offset:         154
        .size:           2
        .value_kind:     hidden_remainder_x
      - .offset:         156
        .size:           2
        .value_kind:     hidden_remainder_y
      - .offset:         158
        .size:           2
        .value_kind:     hidden_remainder_z
      - .offset:         176
        .size:           8
        .value_kind:     hidden_global_offset_x
      - .offset:         184
        .size:           8
        .value_kind:     hidden_global_offset_y
      - .offset:         192
        .size:           8
        .value_kind:     hidden_global_offset_z
      - .offset:         200
        .size:           2
        .value_kind:     hidden_grid_dims
    .group_segment_fixed_size: 0
    .kernarg_segment_align: 8
    .kernarg_segment_size: 392
    .language:       OpenCL C
    .language_version:
      - 2
      - 0
    .max_flat_workgroup_size: 256
    .name:           _ZL25pad_reflect_1d_kernel_f32PKvPvll15HIP_vector_typeIjLj3EEllllllllllii
    .private_segment_fixed_size: 0
    .sgpr_count:     34
    .sgpr_spill_count: 0
    .symbol:         _ZL25pad_reflect_1d_kernel_f32PKvPvll15HIP_vector_typeIjLj3EEllllllllllii.kd
    .uniform_work_group_size: 1
    .uses_dynamic_stack: false
    .vgpr_count:     6
    .vgpr_spill_count: 0
    .wavefront_size: 32
amdhsa.target:   amdgcn-amd-amdhsa--gfx1250
amdhsa.version:
  - 1
  - 2
...

	.end_amdgpu_metadata
